;; amdgpu-corpus repo=zjin-lcf/HeCBench kind=compiled arch=gfx1100 opt=O3
	.text
	.amdgcn_target "amdgcn-amd-amdhsa--gfx1100"
	.amdhsa_code_object_version 6
	.protected	_Z13haccmk_kerneliiPKfS0_S0_S0_PfS1_S1_fff ; -- Begin function _Z13haccmk_kerneliiPKfS0_S0_S0_PfS1_S1_fff
	.globl	_Z13haccmk_kerneliiPKfS0_S0_S0_PfS1_S1_fff
	.p2align	8
	.type	_Z13haccmk_kerneliiPKfS0_S0_S0_PfS1_S1_fff,@function
_Z13haccmk_kerneliiPKfS0_S0_S0_PfS1_S1_fff: ; @_Z13haccmk_kerneliiPKfS0_S0_S0_PfS1_S1_fff
; %bb.0:
	s_clause 0x1
	s_load_b32 s2, s[0:1], 0x5c
	s_load_b64 s[20:21], s[0:1], 0x0
	s_waitcnt lgkmcnt(0)
	s_and_b32 s2, s2, 0xffff
	s_delay_alu instid0(SALU_CYCLE_1) | instskip(SKIP_1) | instid1(VALU_DEP_1)
	v_mad_u64_u32 v[1:2], null, s15, s2, v[0:1]
	s_mov_b32 s2, exec_lo
	v_cmpx_gt_i32_e64 s20, v1
	s_cbranch_execz .LBB0_5
; %bb.1:
	s_clause 0x2
	s_load_b128 s[16:19], s[0:1], 0x28
	s_load_b64 s[2:3], s[0:1], 0x38
	s_load_b128 s[12:15], s[0:1], 0x40
	v_ashrrev_i32_e32 v2, 31, v1
	v_dual_mov_b32 v3, 0 :: v_dual_mov_b32 v4, 0
	s_cmp_lt_i32 s21, 1
	s_delay_alu instid0(VALU_DEP_2)
	v_lshlrev_b64 v[0:1], 2, v[1:2]
	v_mov_b32_e32 v2, 0
	s_cbranch_scc1 .LBB0_4
; %bb.2:
	s_load_b256 s[4:11], s[0:1], 0x8
	v_mov_b32_e32 v4, 0
	s_mov_b32 s1, 0xb5c589a2
	s_waitcnt lgkmcnt(0)
	v_add_co_u32 v2, vcc_lo, s4, v0
	v_add_co_ci_u32_e32 v3, vcc_lo, s5, v1, vcc_lo
	v_add_co_u32 v6, vcc_lo, s6, v0
	v_add_co_ci_u32_e32 v7, vcc_lo, s7, v1, vcc_lo
	v_add_co_u32 v8, vcc_lo, s8, v0
	v_add_co_ci_u32_e32 v9, vcc_lo, s9, v1, vcc_lo
	global_load_b32 v5, v[2:3], off
	global_load_b32 v6, v[6:7], off
	;; [unrolled: 1-line block ×3, first 2 shown]
	v_dual_mov_b32 v3, 0 :: v_dual_mov_b32 v2, 0
.LBB0_3:                                ; =>This Inner Loop Header: Depth=1
	s_load_b32 s0, s[6:7], 0x0
	s_load_b32 s15, s[4:5], 0x0
	;; [unrolled: 1-line block ×3, first 2 shown]
	s_add_i32 s21, s21, -1
	s_add_u32 s4, s4, 4
	s_addc_u32 s5, s5, 0
	s_add_u32 s6, s6, 4
	s_addc_u32 s7, s7, 0
	;; [unrolled: 2-line block ×3, first 2 shown]
	s_waitcnt vmcnt(1) lgkmcnt(0)
	v_dual_sub_f32 v8, s0, v6 :: v_dual_sub_f32 v9, s15, v5
	s_waitcnt vmcnt(0)
	v_sub_f32_e32 v10, s20, v7
	s_load_b32 s15, s[10:11], 0x0
	s_add_u32 s10, s10, 4
	v_mul_f32_e32 v11, v8, v8
	s_addc_u32 s11, s11, 0
	s_cmp_eq_u32 s21, 0
	s_delay_alu instid0(VALU_DEP_1) | instskip(NEXT) | instid1(VALU_DEP_1)
	v_fmac_f32_e32 v11, v9, v9
	v_fmac_f32_e32 v11, v10, v10
	s_delay_alu instid0(VALU_DEP_1) | instskip(NEXT) | instid1(VALU_DEP_1)
	v_add_f32_e32 v12, s13, v11
	v_cmp_gt_f32_e32 vcc_lo, 0xf800000, v12
	v_mul_f32_e32 v13, 0x4f800000, v12
	s_delay_alu instid0(VALU_DEP_1) | instskip(NEXT) | instid1(VALU_DEP_1)
	v_cndmask_b32_e32 v13, v12, v13, vcc_lo
	v_sqrt_f32_e32 v14, v13
	s_waitcnt_depctr 0xfff
	v_add_nc_u32_e32 v15, -1, v14
	v_add_nc_u32_e32 v16, 1, v14
	s_delay_alu instid0(VALU_DEP_2) | instskip(NEXT) | instid1(VALU_DEP_2)
	v_fma_f32 v17, -v15, v14, v13
	v_fma_f32 v18, -v16, v14, v13
	s_delay_alu instid0(VALU_DEP_2) | instskip(NEXT) | instid1(VALU_DEP_1)
	v_cmp_ge_f32_e64 s0, 0, v17
	v_cndmask_b32_e64 v14, v14, v15, s0
	s_delay_alu instid0(VALU_DEP_3) | instskip(NEXT) | instid1(VALU_DEP_1)
	v_cmp_lt_f32_e64 s0, 0, v18
	v_cndmask_b32_e64 v14, v14, v16, s0
	s_delay_alu instid0(VALU_DEP_1) | instskip(NEXT) | instid1(VALU_DEP_1)
	v_mul_f32_e32 v15, 0x37800000, v14
	v_cndmask_b32_e32 v14, v14, v15, vcc_lo
	v_cmp_class_f32_e64 vcc_lo, v13, 0x260
	s_delay_alu instid0(VALU_DEP_2) | instskip(NEXT) | instid1(VALU_DEP_1)
	v_cndmask_b32_e32 v13, v14, v13, vcc_lo
	v_dual_mul_f32 v12, v12, v13 :: v_dual_fmaak_f32 v15, s1, v11, 0x387df61a
	v_cmp_gt_f32_e64 s0, s12, v11
	s_delay_alu instid0(VALU_DEP_2) | instskip(SKIP_1) | instid1(VALU_DEP_4)
	v_div_scale_f32 v13, null, v12, v12, 1.0
	v_div_scale_f32 v16, vcc_lo, 1.0, v12, 1.0
	v_fmaak_f32 v15, v11, v15, 0xba8f475b
	s_delay_alu instid0(VALU_DEP_3) | instskip(NEXT) | instid1(VALU_DEP_1)
	v_rcp_f32_e32 v14, v13
	v_fmaak_f32 v15, v11, v15, 0x3c3c19f7
	s_delay_alu instid0(VALU_DEP_1) | instskip(SKIP_2) | instid1(VALU_DEP_1)
	v_fmaak_f32 v15, v11, v15, 0xbd99cce0
	s_waitcnt_depctr 0xfff
	v_fma_f32 v17, -v13, v14, 1.0
	v_dual_fmaak_f32 v11, v11, v15, 0x3e89e53b :: v_dual_fmac_f32 v14, v17, v14
	s_delay_alu instid0(VALU_DEP_1) | instskip(NEXT) | instid1(VALU_DEP_1)
	v_mul_f32_e32 v17, v16, v14
	v_fma_f32 v18, -v13, v17, v16
	s_delay_alu instid0(VALU_DEP_1) | instskip(NEXT) | instid1(VALU_DEP_1)
	v_fmac_f32_e32 v17, v18, v14
	v_fma_f32 v13, -v13, v17, v16
	s_delay_alu instid0(VALU_DEP_1) | instskip(SKIP_1) | instid1(VALU_DEP_2)
	v_div_fmas_f32 v13, v13, v14, v17
	v_cndmask_b32_e64 v14, 0, 1.0, s0
	v_div_fixup_f32 v12, v13, v12, 1.0
	s_waitcnt lgkmcnt(0)
	s_delay_alu instid0(VALU_DEP_2) | instskip(NEXT) | instid1(VALU_DEP_2)
	v_mul_f32_e32 v13, s15, v14
	v_sub_f32_e32 v11, v12, v11
	s_delay_alu instid0(VALU_DEP_1) | instskip(NEXT) | instid1(VALU_DEP_1)
	v_mul_f32_e32 v11, v13, v11
	v_fmac_f32_e32 v4, v10, v11
	v_fmac_f32_e32 v3, v9, v11
	;; [unrolled: 1-line block ×3, first 2 shown]
	s_cbranch_scc0 .LBB0_3
.LBB0_4:
	s_waitcnt lgkmcnt(0)
	s_delay_alu instid0(VALU_DEP_2) | instskip(NEXT) | instid1(VALU_DEP_3)
	v_add_co_u32 v5, vcc_lo, s16, v0
	v_add_co_ci_u32_e32 v6, vcc_lo, s17, v1, vcc_lo
	v_add_co_u32 v7, vcc_lo, s18, v0
	v_add_co_ci_u32_e32 v8, vcc_lo, s19, v1, vcc_lo
	;; [unrolled: 2-line block ×3, first 2 shown]
	global_load_b32 v9, v[5:6], off
	global_load_b32 v10, v[7:8], off
	;; [unrolled: 1-line block ×3, first 2 shown]
	s_waitcnt vmcnt(1)
	v_dual_fmac_f32 v9, s14, v3 :: v_dual_fmac_f32 v10, s14, v2
	s_waitcnt vmcnt(0)
	v_fmac_f32_e32 v11, s14, v4
	global_store_b32 v[5:6], v9, off
	global_store_b32 v[7:8], v10, off
	;; [unrolled: 1-line block ×3, first 2 shown]
.LBB0_5:
	s_nop 0
	s_sendmsg sendmsg(MSG_DEALLOC_VGPRS)
	s_endpgm
	.section	.rodata,"a",@progbits
	.p2align	6, 0x0
	.amdhsa_kernel _Z13haccmk_kerneliiPKfS0_S0_S0_PfS1_S1_fff
		.amdhsa_group_segment_fixed_size 0
		.amdhsa_private_segment_fixed_size 0
		.amdhsa_kernarg_size 336
		.amdhsa_user_sgpr_count 15
		.amdhsa_user_sgpr_dispatch_ptr 0
		.amdhsa_user_sgpr_queue_ptr 0
		.amdhsa_user_sgpr_kernarg_segment_ptr 1
		.amdhsa_user_sgpr_dispatch_id 0
		.amdhsa_user_sgpr_private_segment_size 0
		.amdhsa_wavefront_size32 1
		.amdhsa_uses_dynamic_stack 0
		.amdhsa_enable_private_segment 0
		.amdhsa_system_sgpr_workgroup_id_x 1
		.amdhsa_system_sgpr_workgroup_id_y 0
		.amdhsa_system_sgpr_workgroup_id_z 0
		.amdhsa_system_sgpr_workgroup_info 0
		.amdhsa_system_vgpr_workitem_id 0
		.amdhsa_next_free_vgpr 19
		.amdhsa_next_free_sgpr 22
		.amdhsa_reserve_vcc 1
		.amdhsa_float_round_mode_32 0
		.amdhsa_float_round_mode_16_64 0
		.amdhsa_float_denorm_mode_32 3
		.amdhsa_float_denorm_mode_16_64 3
		.amdhsa_dx10_clamp 1
		.amdhsa_ieee_mode 1
		.amdhsa_fp16_overflow 0
		.amdhsa_workgroup_processor_mode 1
		.amdhsa_memory_ordered 1
		.amdhsa_forward_progress 0
		.amdhsa_shared_vgpr_count 0
		.amdhsa_exception_fp_ieee_invalid_op 0
		.amdhsa_exception_fp_denorm_src 0
		.amdhsa_exception_fp_ieee_div_zero 0
		.amdhsa_exception_fp_ieee_overflow 0
		.amdhsa_exception_fp_ieee_underflow 0
		.amdhsa_exception_fp_ieee_inexact 0
		.amdhsa_exception_int_div_zero 0
	.end_amdhsa_kernel
	.text
.Lfunc_end0:
	.size	_Z13haccmk_kerneliiPKfS0_S0_S0_PfS1_S1_fff, .Lfunc_end0-_Z13haccmk_kerneliiPKfS0_S0_S0_PfS1_S1_fff
                                        ; -- End function
	.section	.AMDGPU.csdata,"",@progbits
; Kernel info:
; codeLenInByte = 792
; NumSgprs: 24
; NumVgprs: 19
; ScratchSize: 0
; MemoryBound: 0
; FloatMode: 240
; IeeeMode: 1
; LDSByteSize: 0 bytes/workgroup (compile time only)
; SGPRBlocks: 2
; VGPRBlocks: 2
; NumSGPRsForWavesPerEU: 24
; NumVGPRsForWavesPerEU: 19
; Occupancy: 16
; WaveLimiterHint : 0
; COMPUTE_PGM_RSRC2:SCRATCH_EN: 0
; COMPUTE_PGM_RSRC2:USER_SGPR: 15
; COMPUTE_PGM_RSRC2:TRAP_HANDLER: 0
; COMPUTE_PGM_RSRC2:TGID_X_EN: 1
; COMPUTE_PGM_RSRC2:TGID_Y_EN: 0
; COMPUTE_PGM_RSRC2:TGID_Z_EN: 0
; COMPUTE_PGM_RSRC2:TIDIG_COMP_CNT: 0
	.text
	.p2alignl 7, 3214868480
	.fill 96, 4, 3214868480
	.type	__hip_cuid_4601f2610e263c8b,@object ; @__hip_cuid_4601f2610e263c8b
	.section	.bss,"aw",@nobits
	.globl	__hip_cuid_4601f2610e263c8b
__hip_cuid_4601f2610e263c8b:
	.byte	0                               ; 0x0
	.size	__hip_cuid_4601f2610e263c8b, 1

	.ident	"AMD clang version 19.0.0git (https://github.com/RadeonOpenCompute/llvm-project roc-6.4.0 25133 c7fe45cf4b819c5991fe208aaa96edf142730f1d)"
	.section	".note.GNU-stack","",@progbits
	.addrsig
	.addrsig_sym __hip_cuid_4601f2610e263c8b
	.amdgpu_metadata
---
amdhsa.kernels:
  - .args:
      - .offset:         0
        .size:           4
        .value_kind:     by_value
      - .offset:         4
        .size:           4
        .value_kind:     by_value
      - .actual_access:  read_only
        .address_space:  global
        .offset:         8
        .size:           8
        .value_kind:     global_buffer
      - .actual_access:  read_only
        .address_space:  global
        .offset:         16
        .size:           8
        .value_kind:     global_buffer
      - .actual_access:  read_only
        .address_space:  global
        .offset:         24
        .size:           8
        .value_kind:     global_buffer
      - .actual_access:  read_only
        .address_space:  global
        .offset:         32
        .size:           8
        .value_kind:     global_buffer
      - .address_space:  global
        .offset:         40
        .size:           8
        .value_kind:     global_buffer
      - .address_space:  global
        .offset:         48
        .size:           8
        .value_kind:     global_buffer
      - .address_space:  global
        .offset:         56
        .size:           8
        .value_kind:     global_buffer
      - .offset:         64
        .size:           4
        .value_kind:     by_value
      - .offset:         68
        .size:           4
        .value_kind:     by_value
      - .offset:         72
        .size:           4
        .value_kind:     by_value
      - .offset:         80
        .size:           4
        .value_kind:     hidden_block_count_x
      - .offset:         84
        .size:           4
        .value_kind:     hidden_block_count_y
      - .offset:         88
        .size:           4
        .value_kind:     hidden_block_count_z
      - .offset:         92
        .size:           2
        .value_kind:     hidden_group_size_x
      - .offset:         94
        .size:           2
        .value_kind:     hidden_group_size_y
      - .offset:         96
        .size:           2
        .value_kind:     hidden_group_size_z
      - .offset:         98
        .size:           2
        .value_kind:     hidden_remainder_x
      - .offset:         100
        .size:           2
        .value_kind:     hidden_remainder_y
      - .offset:         102
        .size:           2
        .value_kind:     hidden_remainder_z
      - .offset:         120
        .size:           8
        .value_kind:     hidden_global_offset_x
      - .offset:         128
        .size:           8
        .value_kind:     hidden_global_offset_y
      - .offset:         136
        .size:           8
        .value_kind:     hidden_global_offset_z
      - .offset:         144
        .size:           2
        .value_kind:     hidden_grid_dims
    .group_segment_fixed_size: 0
    .kernarg_segment_align: 8
    .kernarg_segment_size: 336
    .language:       OpenCL C
    .language_version:
      - 2
      - 0
    .max_flat_workgroup_size: 1024
    .name:           _Z13haccmk_kerneliiPKfS0_S0_S0_PfS1_S1_fff
    .private_segment_fixed_size: 0
    .sgpr_count:     24
    .sgpr_spill_count: 0
    .symbol:         _Z13haccmk_kerneliiPKfS0_S0_S0_PfS1_S1_fff.kd
    .uniform_work_group_size: 1
    .uses_dynamic_stack: false
    .vgpr_count:     19
    .vgpr_spill_count: 0
    .wavefront_size: 32
    .workgroup_processor_mode: 1
amdhsa.target:   amdgcn-amd-amdhsa--gfx1100
amdhsa.version:
  - 1
  - 2
...

	.end_amdgpu_metadata
